;; amdgpu-corpus repo=ROCm/rocFFT kind=compiled arch=gfx906 opt=O3
	.text
	.amdgcn_target "amdgcn-amd-amdhsa--gfx906"
	.amdhsa_code_object_version 6
	.protected	bluestein_single_fwd_len42_dim1_sp_op_CI_CI ; -- Begin function bluestein_single_fwd_len42_dim1_sp_op_CI_CI
	.globl	bluestein_single_fwd_len42_dim1_sp_op_CI_CI
	.p2align	8
	.type	bluestein_single_fwd_len42_dim1_sp_op_CI_CI,@function
bluestein_single_fwd_len42_dim1_sp_op_CI_CI: ; @bluestein_single_fwd_len42_dim1_sp_op_CI_CI
; %bb.0:
	v_mul_u32_u24_e32 v1, 0x2493, v0
	s_load_dwordx4 s[0:3], s[4:5], 0x28
	v_lshrrev_b32_e32 v1, 16, v1
	v_mad_u64_u32 v[20:21], s[6:7], s6, 36, v[1:2]
	v_mov_b32_e32 v21, 0
	s_waitcnt lgkmcnt(0)
	v_cmp_gt_u64_e32 vcc, s[0:1], v[20:21]
	s_and_saveexec_b64 s[0:1], vcc
	s_cbranch_execz .LBB0_15
; %bb.1:
	s_mov_b32 s0, 0x38e38e39
	v_mul_hi_u32 v2, v20, s0
	s_load_dwordx2 s[12:13], s[4:5], 0x0
	s_load_dwordx2 s[6:7], s[4:5], 0x38
	v_mul_lo_u16_e32 v1, 7, v1
	v_sub_u16_e32 v26, v0, v1
	v_lshrrev_b32_e32 v2, 3, v2
	v_mul_lo_u32 v2, v2, 36
	v_cmp_gt_u16_e32 vcc, 6, v26
	v_lshlrev_b32_e32 v27, 3, v26
	v_or_b32_e32 v25, 24, v26
	v_sub_u32_e32 v0, v20, v2
	v_mul_u32_u24_e32 v14, 42, v0
	v_lshlrev_b32_e32 v28, 3, v14
	s_and_saveexec_b64 s[14:15], vcc
	s_cbranch_execz .LBB0_3
; %bb.2:
	s_load_dwordx2 s[0:1], s[4:5], 0x18
	v_add_u32_e32 v19, v28, v27
	s_waitcnt lgkmcnt(0)
	s_load_dwordx4 s[8:11], s[0:1], 0x0
	s_waitcnt lgkmcnt(0)
	v_mad_u64_u32 v[0:1], s[0:1], s10, v20, 0
	v_mad_u64_u32 v[2:3], s[0:1], s8, v26, 0
	;; [unrolled: 1-line block ×4, first 2 shown]
	v_mov_b32_e32 v1, v4
	v_lshlrev_b64 v[0:1], 3, v[0:1]
	v_mov_b32_e32 v3, v5
	v_mov_b32_e32 v6, s3
	v_lshlrev_b64 v[2:3], 3, v[2:3]
	v_add_co_u32_e64 v13, s[0:1], s2, v0
	v_addc_co_u32_e64 v15, s[0:1], v6, v1, s[0:1]
	v_add_co_u32_e64 v0, s[0:1], v13, v2
	v_addc_co_u32_e64 v1, s[0:1], v15, v3, s[0:1]
	s_mul_i32 s0, s9, 48
	s_mul_hi_u32 s1, s8, 48
	s_add_i32 s2, s1, s0
	v_mad_u64_u32 v[4:5], s[0:1], s8, v25, 0
	s_mul_i32 s3, s8, 48
	v_mov_b32_e32 v7, s2
	v_add_co_u32_e64 v6, s[0:1], s3, v0
	v_addc_co_u32_e64 v7, s[0:1], v1, v7, s[0:1]
	v_mad_u64_u32 v[8:9], s[0:1], s9, v25, v[5:6]
	global_load_dwordx2 v[2:3], v27, s[12:13]
	global_load_dwordx2 v[9:10], v[0:1], off
	global_load_dwordx2 v[11:12], v[6:7], off
	v_mov_b32_e32 v5, v8
	v_lshlrev_b64 v[0:1], 3, v[4:5]
	v_mov_b32_e32 v17, s2
	v_add_co_u32_e64 v0, s[0:1], v13, v0
	v_addc_co_u32_e64 v1, s[0:1], v15, v1, s[0:1]
	global_load_dwordx2 v[4:5], v[0:1], off
	global_load_dwordx2 v[15:16], v27, s[12:13] offset:192
	v_add_co_u32_e64 v0, s[0:1], s3, v6
	v_addc_co_u32_e64 v1, s[0:1], v7, v17, s[0:1]
	v_mov_b32_e32 v8, s2
	v_add_co_u32_e64 v21, s[0:1], s3, v0
	v_addc_co_u32_e64 v22, s[0:1], v1, v8, s[0:1]
	v_mov_b32_e32 v8, 0x60
	v_mad_u64_u32 v[23:24], s[0:1], s8, v8, v[21:22]
	global_load_dwordx2 v[6:7], v27, s[12:13] offset:48
	global_load_dwordx2 v[17:18], v27, s[12:13] offset:96
	s_mul_i32 s0, s9, 0x60
	global_load_dwordx2 v[0:1], v[0:1], off
	s_nop 0
	global_load_dwordx2 v[29:30], v[21:22], off
	global_load_dwordx2 v[31:32], v27, s[12:13] offset:144
	v_add_u32_e32 v24, s0, v24
	global_load_dwordx2 v[21:22], v[23:24], off
	global_load_dwordx2 v[33:34], v27, s[12:13] offset:240
	v_mov_b32_e32 v8, s2
	v_add_co_u32_e64 v23, s[0:1], s3, v23
	v_addc_co_u32_e64 v24, s[0:1], v24, v8, s[0:1]
	global_load_dwordx2 v[35:36], v27, s[12:13] offset:288
	global_load_dwordx2 v[37:38], v[23:24], off
	v_lshl_add_u32 v13, v26, 3, v28
	s_waitcnt vmcnt(12)
	v_mul_f32_e32 v8, v10, v3
	v_mul_f32_e32 v23, v9, v3
	v_fmac_f32_e32 v8, v9, v2
	v_fma_f32 v9, v10, v2, -v23
	ds_write_b64 v13, v[8:9]
	s_waitcnt vmcnt(9)
	v_mul_f32_e32 v3, v5, v16
	v_mul_f32_e32 v16, v4, v16
	v_fmac_f32_e32 v3, v4, v15
	v_fma_f32 v4, v5, v15, -v16
	s_waitcnt vmcnt(8)
	v_mul_f32_e32 v10, v12, v7
	v_mul_f32_e32 v2, v11, v7
	v_fmac_f32_e32 v10, v11, v6
	v_fma_f32 v11, v12, v6, -v2
	;; [unrolled: 5-line block ×4, first 2 shown]
	ds_write2_b64 v19, v[0:1], v[3:4] offset0:18 offset1:24
	s_waitcnt vmcnt(2)
	v_mul_f32_e32 v0, v22, v34
	v_mul_f32_e32 v1, v21, v34
	s_waitcnt vmcnt(0)
	v_mul_f32_e32 v2, v38, v36
	v_mul_f32_e32 v3, v37, v36
	v_fmac_f32_e32 v0, v21, v33
	v_fma_f32 v1, v22, v33, -v1
	v_fmac_f32_e32 v2, v37, v35
	v_fma_f32 v3, v38, v35, -v3
	ds_write2_b64 v19, v[10:11], v[5:6] offset0:6 offset1:12
	ds_write2_b64 v19, v[0:1], v[2:3] offset0:30 offset1:36
.LBB0_3:
	s_or_b64 exec, exec, s[14:15]
	s_load_dwordx2 s[0:1], s[4:5], 0x20
	s_load_dwordx2 s[8:9], s[4:5], 0x8
	v_mov_b32_e32 v2, 0
	v_mov_b32_e32 v3, 0
	;; [unrolled: 1-line block ×8, first 2 shown]
	s_waitcnt lgkmcnt(0)
	s_barrier
	s_waitcnt lgkmcnt(0)
                                        ; implicit-def: $vgpr12
	s_and_saveexec_b64 s[2:3], vcc
	s_cbranch_execz .LBB0_5
; %bb.4:
	v_lshl_add_u32 v12, v14, 3, v27
	ds_read2_b64 v[0:3], v12 offset1:6
	ds_read2_b64 v[4:7], v12 offset0:12 offset1:18
	ds_read2_b64 v[8:11], v12 offset0:24 offset1:30
	ds_read_b64 v[12:13], v12 offset:288
.LBB0_5:
	s_or_b64 exec, exec, s[2:3]
	s_waitcnt lgkmcnt(0)
	v_add_f32_e32 v15, v12, v2
	v_add_f32_e32 v16, v13, v3
	v_sub_f32_e32 v17, v2, v12
	v_sub_f32_e32 v2, v3, v13
	v_add_f32_e32 v3, v10, v4
	v_add_f32_e32 v12, v11, v5
	v_sub_f32_e32 v10, v4, v10
	v_sub_f32_e32 v4, v5, v11
	;; [unrolled: 4-line block ×3, first 2 shown]
	v_add_f32_e32 v8, v15, v3
	v_add_f32_e32 v9, v16, v12
	;; [unrolled: 1-line block ×4, first 2 shown]
	v_sub_f32_e32 v13, v5, v3
	v_sub_f32_e32 v18, v11, v12
	v_add_f32_e32 v21, v4, v7
	v_sub_f32_e32 v23, v6, v10
	v_sub_f32_e32 v24, v7, v4
	v_add_f32_e32 v0, v8, v0
	v_add_f32_e32 v1, v9, v1
	v_sub_f32_e32 v22, v15, v5
	v_sub_f32_e32 v29, v16, v11
	v_add_f32_e32 v19, v10, v6
	v_sub_f32_e32 v31, v17, v6
	v_sub_f32_e32 v32, v2, v7
	v_add_f32_e32 v34, v2, v21
	v_mul_f32_e32 v5, 0x3d64c772, v13
	v_mul_f32_e32 v18, 0x3d64c772, v18
	;; [unrolled: 1-line block ×4, first 2 shown]
	v_mov_b32_e32 v6, v0
	v_mov_b32_e32 v21, v1
	v_add_f32_e32 v33, v17, v19
	v_fmac_f32_e32 v6, 0xbf955555, v8
	v_fmac_f32_e32 v21, 0xbf955555, v9
	v_mov_b32_e32 v13, v5
	v_mov_b32_e32 v19, v18
	;; [unrolled: 1-line block ×4, first 2 shown]
	v_fmac_f32_e32 v13, 0x3f4a47b2, v22
	v_fmac_f32_e32 v19, 0x3f4a47b2, v29
	;; [unrolled: 1-line block ×4, first 2 shown]
	v_add_f32_e32 v13, v13, v6
	v_add_f32_e32 v19, v19, v21
	v_fmac_f32_e32 v8, 0x3ee1c552, v33
	v_fmac_f32_e32 v9, 0x3ee1c552, v34
	v_sub_f32_e32 v23, v13, v9
	v_add_f32_e32 v24, v8, v19
	v_mul_lo_u16_e32 v30, 7, v26
	s_barrier
	s_and_saveexec_b64 s[2:3], vcc
	s_cbranch_execz .LBB0_7
; %bb.6:
	v_mul_f32_e32 v31, 0x3eae86e6, v31
	v_sub_f32_e32 v10, v10, v17
	s_mov_b32 s4, 0xbf5ff5aa
	v_mul_f32_e32 v22, 0x3f4a47b2, v22
	v_fma_f32 v17, v10, s4, -v31
	s_mov_b32 s5, 0xbf3bfb3b
	v_sub_f32_e32 v31, v3, v15
	v_mul_f32_e32 v32, 0x3eae86e6, v32
	v_fma_f32 v3, v31, s5, -v22
	v_sub_f32_e32 v2, v4, v2
	v_mul_f32_e32 v29, 0x3f4a47b2, v29
	v_mul_f32_e32 v34, 0x3ee1c552, v34
	v_sub_f32_e32 v12, v12, v16
	v_add_f32_e32 v22, v3, v6
	v_fma_f32 v3, v2, s4, -v32
	s_mov_b32 s4, 0x3f3bfb3b
	v_fma_f32 v16, v12, s5, -v29
	v_add_f32_e32 v32, v3, v34
	v_fma_f32 v3, v12, s4, -v18
	s_mov_b32 s5, 0x3f5ff5aa
	v_mul_f32_e32 v33, 0x3ee1c552, v33
	v_add_f32_e32 v4, v3, v21
	v_fma_f32 v3, v10, s5, -v11
	v_fma_f32 v2, v2, s5, -v7
	v_add_f32_e32 v10, v3, v33
	v_add_f32_e32 v7, v2, v34
	v_fma_f32 v2, v31, s4, -v5
	v_add_f32_e32 v17, v17, v33
	v_add_f32_e32 v29, v16, v21
	v_sub_f32_e32 v3, v4, v10
	v_add_f32_e32 v6, v2, v6
	v_add_f32_e32 v5, v10, v4
	v_sub_f32_e32 v10, v19, v8
	v_add_f32_e32 v9, v13, v9
	v_add_lshl_u32 v8, v14, v30, 3
	v_add_f32_e32 v16, v17, v29
	v_sub_f32_e32 v15, v22, v32
	v_add_f32_e32 v2, v6, v7
	v_sub_f32_e32 v4, v6, v7
	v_sub_f32_e32 v7, v29, v17
	v_add_f32_e32 v6, v22, v32
	ds_write2_b64 v8, v[0:1], v[9:10] offset1:1
	ds_write2_b64 v8, v[6:7], v[4:5] offset0:2 offset1:3
	ds_write2_b64 v8, v[2:3], v[15:16] offset0:4 offset1:5
	ds_write_b64 v8, v[23:24] offset:48
.LBB0_7:
	s_or_b64 exec, exec, s[2:3]
	v_mad_u64_u32 v[8:9], s[4:5], v26, 40, s[8:9]
	s_load_dwordx4 s[0:3], s[0:1], 0x0
	s_waitcnt lgkmcnt(0)
	s_barrier
	global_load_dwordx4 v[4:7], v[8:9], off
	global_load_dwordx4 v[0:3], v[8:9], off offset:16
	global_load_dwordx2 v[21:22], v[8:9], off offset:32
	v_add_lshl_u32 v31, v14, v26, 3
	ds_read2_b64 v[8:11], v31 offset1:7
	ds_read2_b64 v[12:15], v31 offset0:14 offset1:21
	ds_read2_b64 v[16:19], v31 offset0:28 offset1:35
	v_lshl_add_u32 v29, v26, 3, v28
	s_waitcnt vmcnt(2) lgkmcnt(2)
	v_mul_f32_e32 v33, v10, v5
	s_waitcnt lgkmcnt(1)
	v_mul_f32_e32 v34, v13, v7
	v_mul_f32_e32 v35, v12, v7
	s_waitcnt vmcnt(1)
	v_mul_f32_e32 v36, v15, v1
	v_mul_f32_e32 v37, v14, v1
	s_waitcnt lgkmcnt(0)
	v_mul_f32_e32 v39, v16, v3
	s_waitcnt vmcnt(0)
	v_mul_f32_e32 v40, v19, v22
	v_mul_f32_e32 v41, v18, v22
	;; [unrolled: 1-line block ×4, first 2 shown]
	v_fmac_f32_e32 v33, v11, v4
	v_fma_f32 v11, v12, v6, -v34
	v_fmac_f32_e32 v35, v13, v6
	v_fma_f32 v12, v14, v0, -v36
	v_fmac_f32_e32 v37, v15, v0
	v_fmac_f32_e32 v39, v17, v2
	v_fma_f32 v14, v18, v21, -v40
	v_fmac_f32_e32 v41, v19, v21
	v_fma_f32 v10, v10, v4, -v32
	v_fma_f32 v13, v16, v2, -v38
	v_sub_f32_e32 v17, v35, v39
	v_add_f32_e32 v18, v9, v35
	v_add_f32_e32 v19, v35, v39
	;; [unrolled: 1-line block ×3, first 2 shown]
	v_sub_f32_e32 v35, v37, v41
	v_add_f32_e32 v36, v33, v37
	v_add_f32_e32 v37, v37, v41
	;; [unrolled: 1-line block ×5, first 2 shown]
	v_fma_f32 v19, -0.5, v19, v9
	v_fmac_f32_e32 v10, -0.5, v34
	v_fmac_f32_e32 v33, -0.5, v37
	v_sub_f32_e32 v11, v11, v13
	v_sub_f32_e32 v12, v12, v14
	v_add_f32_e32 v13, v15, v13
	v_fma_f32 v16, -0.5, v16, v8
	v_add_f32_e32 v15, v18, v39
	v_add_f32_e32 v18, v36, v41
	v_mov_b32_e32 v34, v19
	v_mov_b32_e32 v36, v10
	v_fmac_f32_e32 v10, 0xbf5db3d7, v35
	v_mov_b32_e32 v37, v33
	v_add_f32_e32 v14, v32, v14
	v_mov_b32_e32 v32, v16
	v_fmac_f32_e32 v19, 0x3f5db3d7, v11
	v_fmac_f32_e32 v33, 0x3f5db3d7, v12
	;; [unrolled: 1-line block ×5, first 2 shown]
	v_mul_f32_e32 v11, -0.5, v10
	v_fmac_f32_e32 v16, 0xbf5db3d7, v17
	v_fmac_f32_e32 v32, 0x3f5db3d7, v17
	v_mul_f32_e32 v17, -0.5, v33
	v_mul_f32_e32 v35, 0x3f5db3d7, v37
	v_fmac_f32_e32 v11, 0x3f5db3d7, v33
	v_mul_f32_e32 v33, 0xbf5db3d7, v36
	v_fmac_f32_e32 v17, 0xbf5db3d7, v10
	v_fmac_f32_e32 v35, 0.5, v36
	v_fmac_f32_e32 v33, 0.5, v37
	v_add_f32_e32 v8, v13, v14
	v_add_f32_e32 v9, v15, v18
	v_sub_f32_e32 v14, v13, v14
	v_sub_f32_e32 v15, v15, v18
	v_add_f32_e32 v12, v16, v11
	v_add_f32_e32 v13, v19, v17
	v_sub_f32_e32 v18, v16, v11
	v_sub_f32_e32 v19, v19, v17
	;; [unrolled: 4-line block ×3, first 2 shown]
	ds_write2_b64 v29, v[12:13], v[14:15] offset0:14 offset1:21
	ds_write2_b64 v29, v[8:9], v[10:11] offset1:7
	ds_write2_b64 v29, v[16:17], v[18:19] offset0:28 offset1:35
	s_waitcnt lgkmcnt(0)
	s_barrier
	s_and_saveexec_b64 s[4:5], vcc
	s_cbranch_execz .LBB0_9
; %bb.8:
	global_load_dwordx2 v[44:45], v27, s[12:13] offset:336
	s_add_u32 s8, s12, 0x150
	s_addc_u32 s9, s13, 0
	global_load_dwordx2 v[46:47], v27, s[8:9] offset:48
	global_load_dwordx2 v[48:49], v27, s[8:9] offset:96
	;; [unrolled: 1-line block ×6, first 2 shown]
	ds_read2_b64 v[32:35], v29 offset1:6
	ds_read2_b64 v[36:39], v29 offset0:12 offset1:18
	ds_read2_b64 v[40:43], v29 offset0:24 offset1:30
	ds_read_b64 v[58:59], v29 offset:288
	s_waitcnt vmcnt(3) lgkmcnt(2)
	v_mul_f32_e32 v62, v39, v51
	v_mul_f32_e32 v60, v33, v45
	;; [unrolled: 1-line block ×3, first 2 shown]
	v_fma_f32 v60, v32, v44, -v60
	v_fmac_f32_e32 v61, v33, v44
	v_mul_f32_e32 v32, v35, v47
	v_mul_f32_e32 v33, v34, v47
	;; [unrolled: 1-line block ×4, first 2 shown]
	v_fma_f32 v32, v34, v46, -v32
	v_fmac_f32_e32 v33, v35, v46
	v_mul_f32_e32 v35, v38, v51
	s_waitcnt vmcnt(2) lgkmcnt(1)
	v_mul_f32_e32 v46, v41, v53
	v_mul_f32_e32 v47, v40, v53
	s_waitcnt vmcnt(1)
	v_mul_f32_e32 v51, v43, v55
	v_fma_f32 v44, v36, v48, -v44
	v_mul_f32_e32 v49, v42, v55
	v_fmac_f32_e32 v45, v37, v48
	s_waitcnt vmcnt(0) lgkmcnt(0)
	v_mul_f32_e32 v36, v59, v57
	v_mul_f32_e32 v37, v58, v57
	v_fma_f32 v34, v38, v50, -v62
	v_fmac_f32_e32 v35, v39, v50
	v_fma_f32 v46, v40, v52, -v46
	v_fmac_f32_e32 v47, v41, v52
	;; [unrolled: 2-line block ×4, first 2 shown]
	ds_write2_b64 v29, v[60:61], v[32:33] offset1:6
	ds_write2_b64 v29, v[44:45], v[34:35] offset0:12 offset1:18
	ds_write2_b64 v29, v[46:47], v[48:49] offset0:24 offset1:30
	ds_write_b64 v29, v[36:37] offset:288
.LBB0_9:
	s_or_b64 exec, exec, s[4:5]
	s_waitcnt lgkmcnt(0)
	s_barrier
	s_and_saveexec_b64 s[4:5], vcc
	s_cbranch_execz .LBB0_11
; %bb.10:
	ds_read2_b64 v[8:11], v29 offset1:6
	ds_read2_b64 v[12:15], v29 offset0:12 offset1:18
	ds_read2_b64 v[16:19], v29 offset0:24 offset1:30
	ds_read_b64 v[23:24], v29 offset:288
.LBB0_11:
	s_or_b64 exec, exec, s[4:5]
	s_waitcnt lgkmcnt(0)
	s_barrier
	s_and_saveexec_b64 s[4:5], vcc
	s_cbranch_execz .LBB0_13
; %bb.12:
	v_sub_f32_e32 v34, v10, v23
	v_sub_f32_e32 v32, v16, v14
	v_sub_f32_e32 v36, v12, v18
	v_sub_f32_e32 v35, v34, v32
	v_sub_f32_e32 v33, v32, v36
	v_add_f32_e32 v32, v32, v36
	v_add_f32_e32 v39, v32, v34
	;; [unrolled: 1-line block ×4, first 2 shown]
	v_mul_f32_e32 v37, 0x3f08b237, v33
	v_sub_f32_e32 v33, v40, v32
	v_mul_f32_e32 v41, 0x3f4a47b2, v33
	v_add_f32_e32 v42, v19, v13
	v_sub_f32_e32 v33, v32, v42
	v_mov_b32_e32 v44, v41
	v_mul_f32_e32 v43, 0x3d64c772, v33
	v_fmac_f32_e32 v44, 0x3d64c772, v33
	v_add_f32_e32 v33, v42, v40
	v_add_f32_e32 v32, v32, v33
	v_add_f32_e32 v10, v23, v10
	v_add_f32_e32 v14, v14, v16
	v_add_f32_e32 v9, v9, v32
	v_sub_f32_e32 v16, v10, v14
	v_mov_b32_e32 v45, v9
	v_mul_f32_e32 v16, 0x3f4a47b2, v16
	v_add_f32_e32 v12, v18, v12
	v_fmac_f32_e32 v45, 0xbf955555, v32
	v_sub_f32_e32 v18, v14, v12
	v_mov_b32_e32 v32, v16
	v_mul_f32_e32 v23, 0x3d64c772, v18
	v_fmac_f32_e32 v32, 0x3d64c772, v18
	v_add_f32_e32 v18, v12, v10
	v_add_f32_e32 v14, v14, v18
	;; [unrolled: 1-line block ×3, first 2 shown]
	v_mov_b32_e32 v18, v8
	v_fmac_f32_e32 v18, 0xbf955555, v14
	v_sub_f32_e32 v14, v11, v24
	v_sub_f32_e32 v11, v17, v15
	;; [unrolled: 1-line block ×5, first 2 shown]
	v_add_f32_e32 v11, v11, v13
	s_mov_b32 s10, 0xbf3bfb3b
	v_sub_f32_e32 v12, v12, v10
	v_mul_f32_e32 v17, 0x3f08b237, v17
	v_add_f32_e32 v19, v11, v14
	v_sub_f32_e32 v34, v36, v34
	v_fma_f32 v10, v12, s10, -v16
	v_sub_f32_e32 v14, v13, v14
	v_mov_b32_e32 v38, v37
	v_mov_b32_e32 v24, v17
	v_mul_f32_e32 v11, 0xbf5ff5aa, v34
	s_mov_b32 s9, 0x3eae86e6
	v_sub_f32_e32 v36, v42, v40
	v_add_f32_e32 v16, v10, v18
	v_mul_f32_e32 v10, 0xbf5ff5aa, v14
	v_fmac_f32_e32 v38, 0xbeae86e6, v35
	v_fmac_f32_e32 v24, 0xbeae86e6, v15
	s_mov_b32 s8, 0xbf5ff5aa
	v_fma_f32 v35, v35, s9, -v11
	v_fma_f32 v11, v36, s10, -v41
	;; [unrolled: 1-line block ×3, first 2 shown]
	s_mov_b32 s9, 0x3f3bfb3b
	v_fmac_f32_e32 v38, 0xbee1c552, v39
	v_add_f32_e32 v44, v44, v45
	v_add_f32_e32 v46, v32, v18
	v_fmac_f32_e32 v24, 0xbee1c552, v19
	v_fma_f32 v13, v36, s9, -v43
	v_fma_f32 v34, v34, s8, -v37
	;; [unrolled: 1-line block ×4, first 2 shown]
	v_fmac_f32_e32 v35, 0xbee1c552, v39
	v_add_f32_e32 v40, v11, v45
	v_fmac_f32_e32 v41, 0xbee1c552, v19
	v_add_f32_e32 v15, v13, v45
	v_fmac_f32_e32 v34, 0xbee1c552, v39
	v_fmac_f32_e32 v14, 0xbee1c552, v19
	v_add_f32_e32 v17, v12, v18
	v_sub_f32_e32 v19, v44, v38
	v_add_f32_e32 v18, v46, v24
	v_lshl_add_u32 v23, v30, 3, v28
	v_add_f32_e32 v33, v38, v44
	v_sub_f32_e32 v32, v46, v24
	v_add_f32_e32 v11, v35, v40
	v_sub_f32_e32 v10, v16, v41
	v_sub_f32_e32 v13, v15, v34
	v_add_f32_e32 v12, v14, v17
	v_add_f32_e32 v15, v34, v15
	v_sub_f32_e32 v14, v17, v14
	v_sub_f32_e32 v17, v40, v35
	v_add_f32_e32 v16, v41, v16
	ds_write2_b64 v23, v[8:9], v[18:19] offset1:1
	ds_write2_b64 v23, v[16:17], v[14:15] offset0:2 offset1:3
	ds_write2_b64 v23, v[12:13], v[10:11] offset0:4 offset1:5
	ds_write_b64 v23, v[32:33] offset:48
.LBB0_13:
	s_or_b64 exec, exec, s[4:5]
	s_waitcnt lgkmcnt(0)
	s_barrier
	ds_read2_b64 v[8:11], v31 offset1:7
	ds_read2_b64 v[12:15], v31 offset0:14 offset1:21
	ds_read2_b64 v[16:19], v31 offset0:28 offset1:35
	s_waitcnt lgkmcnt(2)
	v_mul_f32_e32 v23, v5, v11
	v_mul_f32_e32 v5, v5, v10
	v_fmac_f32_e32 v23, v4, v10
	v_fma_f32 v5, v4, v11, -v5
	s_waitcnt lgkmcnt(1)
	v_mul_f32_e32 v4, v7, v13
	v_mul_f32_e32 v7, v7, v12
	v_fmac_f32_e32 v4, v6, v12
	v_fma_f32 v6, v6, v13, -v7
	v_mul_f32_e32 v7, v1, v15
	v_mul_f32_e32 v1, v1, v14
	v_fmac_f32_e32 v7, v0, v14
	v_fma_f32 v0, v0, v15, -v1
	s_waitcnt lgkmcnt(0)
	v_mul_f32_e32 v1, v3, v17
	v_fmac_f32_e32 v1, v2, v16
	v_mul_f32_e32 v3, v3, v16
	v_add_f32_e32 v12, v4, v1
	v_fma_f32 v2, v2, v17, -v3
	v_fma_f32 v12, -0.5, v12, v8
	v_add_f32_e32 v11, v8, v4
	v_sub_f32_e32 v8, v6, v2
	v_mov_b32_e32 v13, v12
	v_fmac_f32_e32 v13, 0xbf5db3d7, v8
	v_fmac_f32_e32 v12, 0x3f5db3d7, v8
	v_add_f32_e32 v8, v9, v6
	v_add_f32_e32 v14, v8, v2
	;; [unrolled: 1-line block ×3, first 2 shown]
	v_fma_f32 v15, -0.5, v2, v9
	v_mul_f32_e32 v3, v22, v19
	v_add_f32_e32 v11, v11, v1
	v_sub_f32_e32 v1, v4, v1
	v_mov_b32_e32 v9, v15
	v_fmac_f32_e32 v3, v21, v18
	v_fmac_f32_e32 v9, 0x3f5db3d7, v1
	;; [unrolled: 1-line block ×3, first 2 shown]
	v_add_f32_e32 v1, v23, v7
	v_mul_f32_e32 v10, v22, v18
	v_add_f32_e32 v6, v1, v3
	v_add_f32_e32 v1, v7, v3
	v_fma_f32 v10, v21, v19, -v10
	v_fmac_f32_e32 v23, -0.5, v1
	v_sub_f32_e32 v1, v0, v10
	v_mov_b32_e32 v8, v23
	v_fmac_f32_e32 v8, 0xbf5db3d7, v1
	v_fmac_f32_e32 v23, 0x3f5db3d7, v1
	v_add_f32_e32 v1, v5, v0
	v_add_f32_e32 v0, v0, v10
	v_fmac_f32_e32 v5, -0.5, v0
	v_sub_f32_e32 v0, v7, v3
	v_mov_b32_e32 v3, v5
	v_fmac_f32_e32 v3, 0x3f5db3d7, v0
	v_fmac_f32_e32 v5, 0xbf5db3d7, v0
	v_mul_f32_e32 v7, 0xbf5db3d7, v3
	v_mul_f32_e32 v17, 0.5, v3
	v_add_f32_e32 v16, v1, v10
	v_fmac_f32_e32 v7, 0.5, v8
	v_mul_f32_e32 v10, 0xbf5db3d7, v5
	v_fmac_f32_e32 v17, 0x3f5db3d7, v8
	v_mul_f32_e32 v18, -0.5, v5
	v_add_f32_e32 v0, v11, v6
	v_add_f32_e32 v2, v13, v7
	v_fmac_f32_e32 v10, -0.5, v23
	v_add_f32_e32 v1, v14, v16
	v_add_f32_e32 v3, v9, v17
	v_fmac_f32_e32 v18, 0x3f5db3d7, v23
	v_add_f32_e32 v4, v12, v10
	v_add_f32_e32 v5, v15, v18
	v_sub_f32_e32 v6, v11, v6
	v_sub_f32_e32 v8, v13, v7
	;; [unrolled: 1-line block ×6, first 2 shown]
	ds_write2_b64 v29, v[0:1], v[2:3] offset1:7
	ds_write2_b64 v29, v[4:5], v[6:7] offset0:14 offset1:21
	ds_write2_b64 v29, v[8:9], v[10:11] offset0:28 offset1:35
	s_waitcnt lgkmcnt(0)
	s_barrier
	s_and_b64 exec, exec, vcc
	s_cbranch_execz .LBB0_15
; %bb.14:
	global_load_dwordx2 v[8:9], v27, s[12:13]
	global_load_dwordx2 v[10:11], v27, s[12:13] offset:48
	global_load_dwordx2 v[12:13], v27, s[12:13] offset:96
	;; [unrolled: 1-line block ×4, first 2 shown]
	ds_read_b64 v[21:22], v29
	ds_read2_b64 v[0:3], v29 offset0:6 offset1:12
	ds_read2_b64 v[4:7], v29 offset0:18 offset1:24
	global_load_dwordx2 v[30:31], v27, s[12:13] offset:240
	global_load_dwordx2 v[32:33], v27, s[12:13] offset:288
	v_mad_u64_u32 v[18:19], s[4:5], s2, v20, 0
	v_mad_u64_u32 v[23:24], s[8:9], s0, v26, 0
	v_mov_b32_e32 v28, s7
	s_mul_i32 s2, s1, 48
	s_mul_hi_u32 s7, s0, 48
	s_add_i32 s7, s7, s2
	v_mad_u64_u32 v[19:20], s[2:3], s3, v20, v[19:20]
	v_mad_u64_u32 v[26:27], s[2:3], s1, v26, v[24:25]
	v_lshlrev_b64 v[18:19], 3, v[18:19]
	s_mul_i32 s8, s0, 48
	v_mov_b32_e32 v24, v26
	v_lshlrev_b64 v[23:24], 3, v[23:24]
	v_add_co_u32_e32 v36, vcc, s6, v18
	v_addc_co_u32_e32 v28, vcc, v28, v19, vcc
	v_add_co_u32_e32 v18, vcc, v36, v23
	v_addc_co_u32_e32 v19, vcc, v28, v24, vcc
	v_mov_b32_e32 v34, s7
	v_add_co_u32_e32 v23, vcc, s8, v18
	v_addc_co_u32_e32 v24, vcc, v19, v34, vcc
	v_mov_b32_e32 v20, s7
	v_add_co_u32_e32 v26, vcc, s8, v23
	v_addc_co_u32_e32 v27, vcc, v24, v20, vcc
	s_mov_b32 s4, 0x18618618
	s_mov_b32 s5, 0x3f986186
	v_mov_b32_e32 v35, s7
	s_waitcnt vmcnt(6) lgkmcnt(2)
	v_mul_f32_e32 v20, v22, v9
	v_mul_f32_e32 v9, v21, v9
	s_waitcnt vmcnt(5) lgkmcnt(1)
	v_mul_f32_e32 v34, v1, v11
	v_mul_f32_e32 v11, v0, v11
	s_waitcnt vmcnt(4)
	v_mul_f32_e32 v37, v3, v13
	v_mul_f32_e32 v13, v2, v13
	v_fmac_f32_e32 v20, v21, v8
	v_fma_f32 v8, v8, v22, -v9
	s_waitcnt vmcnt(3) lgkmcnt(0)
	v_mul_f32_e32 v38, v5, v15
	v_mul_f32_e32 v15, v4, v15
	s_waitcnt vmcnt(2)
	v_mul_f32_e32 v39, v7, v17
	v_mul_f32_e32 v17, v6, v17
	v_fmac_f32_e32 v34, v0, v10
	v_fma_f32 v9, v10, v1, -v11
	v_fmac_f32_e32 v37, v2, v12
	v_fma_f32 v10, v12, v3, -v13
	v_cvt_f64_f32_e32 v[0:1], v20
	v_cvt_f64_f32_e32 v[2:3], v8
	v_fmac_f32_e32 v38, v4, v14
	v_fma_f32 v14, v14, v5, -v15
	v_fmac_f32_e32 v39, v6, v16
	v_fma_f32 v21, v16, v7, -v17
	v_cvt_f64_f32_e32 v[4:5], v34
	v_cvt_f64_f32_e32 v[6:7], v9
	;; [unrolled: 1-line block ×6, first 2 shown]
	v_mul_f64 v[0:1], v[0:1], s[4:5]
	v_mul_f64 v[2:3], v[2:3], s[4:5]
	;; [unrolled: 1-line block ×8, first 2 shown]
	v_cvt_f64_f32_e32 v[16:17], v39
	v_cvt_f64_f32_e32 v[20:21], v21
	v_cvt_f32_f64_e32 v0, v[0:1]
	v_cvt_f32_f64_e32 v1, v[2:3]
	;; [unrolled: 1-line block ×6, first 2 shown]
	v_mad_u64_u32 v[10:11], s[2:3], s0, v25, 0
	v_cvt_f32_f64_e32 v6, v[12:13]
	v_cvt_f32_f64_e32 v7, v[14:15]
	global_store_dwordx2 v[18:19], v[0:1], off
	global_store_dwordx2 v[23:24], v[2:3], off
	;; [unrolled: 1-line block ×3, first 2 shown]
	v_mul_f64 v[4:5], v[16:17], s[4:5]
	v_mul_f64 v[8:9], v[20:21], s[4:5]
	v_add_co_u32_e32 v12, vcc, s8, v26
	v_addc_co_u32_e32 v13, vcc, v27, v35, vcc
	v_mov_b32_e32 v0, v11
	global_store_dwordx2 v[12:13], v[6:7], off
	v_mad_u64_u32 v[6:7], s[2:3], s1, v25, v[0:1]
	ds_read2_b64 v[0:3], v29 offset0:30 offset1:36
	v_cvt_f32_f64_e32 v4, v[4:5]
	v_cvt_f32_f64_e32 v5, v[8:9]
	v_mov_b32_e32 v11, v6
	v_lshlrev_b64 v[6:7], 3, v[10:11]
	s_waitcnt vmcnt(5) lgkmcnt(0)
	v_mul_f32_e32 v8, v1, v31
	v_fmac_f32_e32 v8, v0, v30
	v_cvt_f64_f32_e32 v[8:9], v8
	s_waitcnt vmcnt(4)
	v_mul_f32_e32 v10, v3, v33
	v_mul_f32_e32 v0, v0, v31
	v_fmac_f32_e32 v10, v2, v32
	v_mul_f32_e32 v2, v2, v33
	v_fma_f32 v0, v30, v1, -v0
	v_fma_f32 v2, v32, v3, -v2
	v_cvt_f64_f32_e32 v[0:1], v0
	v_cvt_f64_f32_e32 v[10:11], v10
	v_cvt_f64_f32_e32 v[2:3], v2
	v_mul_f64 v[8:9], v[8:9], s[4:5]
	v_mul_f64 v[0:1], v[0:1], s[4:5]
	;; [unrolled: 1-line block ×4, first 2 shown]
	v_add_co_u32_e32 v6, vcc, v36, v6
	v_addc_co_u32_e32 v7, vcc, v28, v7, vcc
	v_cvt_f32_f64_e32 v8, v[8:9]
	v_mov_b32_e32 v9, 0x60
	v_mad_u64_u32 v[12:13], s[2:3], s0, v9, v[12:13]
	v_cvt_f32_f64_e32 v9, v[0:1]
	v_cvt_f32_f64_e32 v0, v[10:11]
	;; [unrolled: 1-line block ×3, first 2 shown]
	s_mul_i32 s0, s1, 0x60
	v_add_u32_e32 v13, s0, v13
	v_mov_b32_e32 v3, s7
	v_add_co_u32_e32 v2, vcc, s8, v12
	v_addc_co_u32_e32 v3, vcc, v13, v3, vcc
	global_store_dwordx2 v[6:7], v[4:5], off
	global_store_dwordx2 v[12:13], v[8:9], off
	;; [unrolled: 1-line block ×3, first 2 shown]
.LBB0_15:
	s_endpgm
	.section	.rodata,"a",@progbits
	.p2align	6, 0x0
	.amdhsa_kernel bluestein_single_fwd_len42_dim1_sp_op_CI_CI
		.amdhsa_group_segment_fixed_size 12096
		.amdhsa_private_segment_fixed_size 0
		.amdhsa_kernarg_size 104
		.amdhsa_user_sgpr_count 6
		.amdhsa_user_sgpr_private_segment_buffer 1
		.amdhsa_user_sgpr_dispatch_ptr 0
		.amdhsa_user_sgpr_queue_ptr 0
		.amdhsa_user_sgpr_kernarg_segment_ptr 1
		.amdhsa_user_sgpr_dispatch_id 0
		.amdhsa_user_sgpr_flat_scratch_init 0
		.amdhsa_user_sgpr_private_segment_size 0
		.amdhsa_uses_dynamic_stack 0
		.amdhsa_system_sgpr_private_segment_wavefront_offset 0
		.amdhsa_system_sgpr_workgroup_id_x 1
		.amdhsa_system_sgpr_workgroup_id_y 0
		.amdhsa_system_sgpr_workgroup_id_z 0
		.amdhsa_system_sgpr_workgroup_info 0
		.amdhsa_system_vgpr_workitem_id 0
		.amdhsa_next_free_vgpr 63
		.amdhsa_next_free_sgpr 16
		.amdhsa_reserve_vcc 1
		.amdhsa_reserve_flat_scratch 0
		.amdhsa_float_round_mode_32 0
		.amdhsa_float_round_mode_16_64 0
		.amdhsa_float_denorm_mode_32 3
		.amdhsa_float_denorm_mode_16_64 3
		.amdhsa_dx10_clamp 1
		.amdhsa_ieee_mode 1
		.amdhsa_fp16_overflow 0
		.amdhsa_exception_fp_ieee_invalid_op 0
		.amdhsa_exception_fp_denorm_src 0
		.amdhsa_exception_fp_ieee_div_zero 0
		.amdhsa_exception_fp_ieee_overflow 0
		.amdhsa_exception_fp_ieee_underflow 0
		.amdhsa_exception_fp_ieee_inexact 0
		.amdhsa_exception_int_div_zero 0
	.end_amdhsa_kernel
	.text
.Lfunc_end0:
	.size	bluestein_single_fwd_len42_dim1_sp_op_CI_CI, .Lfunc_end0-bluestein_single_fwd_len42_dim1_sp_op_CI_CI
                                        ; -- End function
	.section	.AMDGPU.csdata,"",@progbits
; Kernel info:
; codeLenInByte = 4024
; NumSgprs: 20
; NumVgprs: 63
; ScratchSize: 0
; MemoryBound: 0
; FloatMode: 240
; IeeeMode: 1
; LDSByteSize: 12096 bytes/workgroup (compile time only)
; SGPRBlocks: 2
; VGPRBlocks: 15
; NumSGPRsForWavesPerEU: 20
; NumVGPRsForWavesPerEU: 63
; Occupancy: 4
; WaveLimiterHint : 1
; COMPUTE_PGM_RSRC2:SCRATCH_EN: 0
; COMPUTE_PGM_RSRC2:USER_SGPR: 6
; COMPUTE_PGM_RSRC2:TRAP_HANDLER: 0
; COMPUTE_PGM_RSRC2:TGID_X_EN: 1
; COMPUTE_PGM_RSRC2:TGID_Y_EN: 0
; COMPUTE_PGM_RSRC2:TGID_Z_EN: 0
; COMPUTE_PGM_RSRC2:TIDIG_COMP_CNT: 0
	.type	__hip_cuid_e8a1a615ba7d49ae,@object ; @__hip_cuid_e8a1a615ba7d49ae
	.section	.bss,"aw",@nobits
	.globl	__hip_cuid_e8a1a615ba7d49ae
__hip_cuid_e8a1a615ba7d49ae:
	.byte	0                               ; 0x0
	.size	__hip_cuid_e8a1a615ba7d49ae, 1

	.ident	"AMD clang version 19.0.0git (https://github.com/RadeonOpenCompute/llvm-project roc-6.4.0 25133 c7fe45cf4b819c5991fe208aaa96edf142730f1d)"
	.section	".note.GNU-stack","",@progbits
	.addrsig
	.addrsig_sym __hip_cuid_e8a1a615ba7d49ae
	.amdgpu_metadata
---
amdhsa.kernels:
  - .args:
      - .actual_access:  read_only
        .address_space:  global
        .offset:         0
        .size:           8
        .value_kind:     global_buffer
      - .actual_access:  read_only
        .address_space:  global
        .offset:         8
        .size:           8
        .value_kind:     global_buffer
      - .actual_access:  read_only
        .address_space:  global
        .offset:         16
        .size:           8
        .value_kind:     global_buffer
      - .actual_access:  read_only
        .address_space:  global
        .offset:         24
        .size:           8
        .value_kind:     global_buffer
      - .actual_access:  read_only
        .address_space:  global
        .offset:         32
        .size:           8
        .value_kind:     global_buffer
      - .offset:         40
        .size:           8
        .value_kind:     by_value
      - .address_space:  global
        .offset:         48
        .size:           8
        .value_kind:     global_buffer
      - .address_space:  global
        .offset:         56
        .size:           8
        .value_kind:     global_buffer
      - .address_space:  global
        .offset:         64
        .size:           8
        .value_kind:     global_buffer
      - .address_space:  global
        .offset:         72
        .size:           8
        .value_kind:     global_buffer
      - .offset:         80
        .size:           4
        .value_kind:     by_value
      - .address_space:  global
        .offset:         88
        .size:           8
        .value_kind:     global_buffer
      - .address_space:  global
        .offset:         96
        .size:           8
        .value_kind:     global_buffer
    .group_segment_fixed_size: 12096
    .kernarg_segment_align: 8
    .kernarg_segment_size: 104
    .language:       OpenCL C
    .language_version:
      - 2
      - 0
    .max_flat_workgroup_size: 252
    .name:           bluestein_single_fwd_len42_dim1_sp_op_CI_CI
    .private_segment_fixed_size: 0
    .sgpr_count:     20
    .sgpr_spill_count: 0
    .symbol:         bluestein_single_fwd_len42_dim1_sp_op_CI_CI.kd
    .uniform_work_group_size: 1
    .uses_dynamic_stack: false
    .vgpr_count:     63
    .vgpr_spill_count: 0
    .wavefront_size: 64
amdhsa.target:   amdgcn-amd-amdhsa--gfx906
amdhsa.version:
  - 1
  - 2
...

	.end_amdgpu_metadata
